;; amdgpu-corpus repo=ROCm/rocFFT kind=compiled arch=gfx950 opt=O3
	.text
	.amdgcn_target "amdgcn-amd-amdhsa--gfx950"
	.amdhsa_code_object_version 6
	.protected	fft_rtc_back_len160_factors_4_10_4_wgs_192_tpt_16_sp_ip_CI_sbcc_twdbase5_3step_dirReg_intrinsicRead ; -- Begin function fft_rtc_back_len160_factors_4_10_4_wgs_192_tpt_16_sp_ip_CI_sbcc_twdbase5_3step_dirReg_intrinsicRead
	.globl	fft_rtc_back_len160_factors_4_10_4_wgs_192_tpt_16_sp_ip_CI_sbcc_twdbase5_3step_dirReg_intrinsicRead
	.p2align	8
	.type	fft_rtc_back_len160_factors_4_10_4_wgs_192_tpt_16_sp_ip_CI_sbcc_twdbase5_3step_dirReg_intrinsicRead,@function
fft_rtc_back_len160_factors_4_10_4_wgs_192_tpt_16_sp_ip_CI_sbcc_twdbase5_3step_dirReg_intrinsicRead: ; @fft_rtc_back_len160_factors_4_10_4_wgs_192_tpt_16_sp_ip_CI_sbcc_twdbase5_3step_dirReg_intrinsicRead
; %bb.0:
	s_load_dwordx8 s[8:15], s[0:1], 0x8
	s_movk_i32 s3, 0x5f
	v_cmp_lt_u32_e64 s[4:5], s3, v0
	s_movk_i32 s3, 0x60
	v_cmp_gt_u32_e64 s[6:7], s3, v0
	s_and_saveexec_b64 s[16:17], s[6:7]
	s_cbranch_execz .LBB0_2
; %bb.1:
	v_lshlrev_b32_e32 v1, 3, v0
	s_waitcnt lgkmcnt(0)
	global_load_dwordx2 v[2:3], v1, s[8:9]
	v_add_u32_e32 v1, 0, v1
	s_waitcnt vmcnt(0)
	ds_write_b64 v1, v[2:3] offset:15360
.LBB0_2:
	s_or_b64 exec, exec, s[16:17]
	s_waitcnt lgkmcnt(0)
	s_load_dwordx2 s[24:25], s[12:13], 0x8
	s_mov_b32 s3, 0
	s_mov_b64 s[28:29], 0
	s_waitcnt lgkmcnt(0)
	s_add_u32 s8, s24, -1
	s_addc_u32 s9, s25, -1
	s_add_u32 s16, 0, 0x55540000
	s_addc_u32 s17, 0, 0x55
	s_mul_hi_u32 s19, s16, -12
	s_add_i32 s17, s17, 0x15555500
	s_sub_i32 s19, s19, s16
	s_mul_i32 s22, s17, -12
	s_mul_i32 s18, s16, -12
	s_add_i32 s19, s19, s22
	s_mul_hi_u32 s20, s17, s18
	s_mul_i32 s21, s17, s18
	s_mul_i32 s23, s16, s19
	s_mul_hi_u32 s18, s16, s18
	s_mul_hi_u32 s22, s16, s19
	s_add_u32 s18, s18, s23
	s_addc_u32 s22, 0, s22
	s_add_u32 s18, s18, s21
	s_mul_hi_u32 s23, s17, s19
	s_addc_u32 s18, s22, s20
	s_addc_u32 s20, s23, 0
	s_mul_i32 s19, s17, s19
	s_add_u32 s18, s18, s19
	v_mov_b32_e32 v1, s18
	s_addc_u32 s19, 0, s20
	v_add_co_u32_e32 v1, vcc, s16, v1
	s_cmp_lg_u64 vcc, 0
	s_addc_u32 s16, s17, s19
	v_readfirstlane_b32 s19, v1
	s_mul_i32 s18, s8, s16
	s_mul_hi_u32 s20, s8, s19
	s_mul_hi_u32 s17, s8, s16
	s_add_u32 s18, s20, s18
	s_addc_u32 s17, 0, s17
	s_mul_hi_u32 s21, s9, s19
	s_mul_i32 s19, s9, s19
	s_add_u32 s18, s18, s19
	s_mul_hi_u32 s20, s9, s16
	s_addc_u32 s17, s17, s21
	s_addc_u32 s18, s20, 0
	s_mul_i32 s16, s9, s16
	s_add_u32 s16, s17, s16
	s_addc_u32 s17, 0, s18
	s_add_u32 s18, s16, 1
	s_addc_u32 s19, s17, 0
	s_add_u32 s20, s16, 2
	s_mul_i32 s22, s17, 12
	s_mul_hi_u32 s23, s16, 12
	s_addc_u32 s21, s17, 0
	s_add_i32 s23, s23, s22
	s_mul_i32 s22, s16, 12
	v_mov_b32_e32 v1, s22
	v_sub_co_u32_e32 v1, vcc, s8, v1
	s_cmp_lg_u64 vcc, 0
	s_subb_u32 s8, s9, s23
	v_subrev_co_u32_e32 v2, vcc, 12, v1
	s_cmp_lg_u64 vcc, 0
	s_subb_u32 s9, s8, 0
	v_readfirstlane_b32 s22, v2
	s_cmp_gt_u32 s22, 11
	s_cselect_b32 s22, -1, 0
	s_cmp_eq_u32 s9, 0
	s_cselect_b32 s9, s22, -1
	s_cmp_lg_u32 s9, 0
	s_cselect_b32 s9, s20, s18
	s_cselect_b32 s18, s21, s19
	v_readfirstlane_b32 s19, v1
	s_cmp_gt_u32 s19, 11
	s_cselect_b32 s19, -1, 0
	s_cmp_eq_u32 s8, 0
	s_cselect_b32 s8, s19, -1
	s_cmp_lg_u32 s8, 0
	s_cselect_b32 s8, s9, s16
	s_cselect_b32 s17, s18, s17
	s_add_u32 s8, s8, 1
	s_addc_u32 s9, s17, 0
	v_mov_b64_e32 v[2:3], s[8:9]
	v_cmp_lt_u64_e32 vcc, s[2:3], v[2:3]
	s_cbranch_vccnz .LBB0_4
; %bb.3:
	v_cvt_f32_u32_e32 v1, s8
	s_sub_i32 s16, 0, s8
	s_mov_b32 s29, s3
	v_rcp_iflag_f32_e32 v1, v1
	s_nop 0
	v_mul_f32_e32 v1, 0x4f7ffffe, v1
	v_cvt_u32_f32_e32 v1, v1
	s_nop 0
	v_readfirstlane_b32 s17, v1
	s_mul_i32 s16, s16, s17
	s_mul_hi_u32 s16, s17, s16
	s_add_i32 s17, s17, s16
	s_mul_hi_u32 s16, s2, s17
	s_mul_i32 s18, s16, s8
	s_sub_i32 s18, s2, s18
	s_add_i32 s17, s16, 1
	s_sub_i32 s19, s18, s8
	s_cmp_ge_u32 s18, s8
	s_cselect_b32 s16, s17, s16
	s_cselect_b32 s18, s19, s18
	s_add_i32 s17, s16, 1
	s_cmp_ge_u32 s18, s8
	s_cselect_b32 s28, s17, s16
.LBB0_4:
	s_load_dwordx2 s[20:21], s[0:1], 0x58
	s_load_dwordx2 s[22:23], s[0:1], 0x0
	s_load_dwordx4 s[16:19], s[14:15], 0x0
	s_mul_i32 s0, s28, s9
	s_mul_hi_u32 s1, s28, s8
	s_add_i32 s1, s1, s0
	s_mul_i32 s0, s28, s8
	s_sub_u32 s0, s2, s0
	s_subb_u32 s1, 0, s1
	s_mul_i32 s1, s1, 12
	s_mul_hi_u32 s26, s0, 12
	s_add_i32 s27, s26, s1
	s_mul_i32 s26, s0, 12
	s_waitcnt lgkmcnt(0)
	s_mul_i32 s0, s18, s27
	s_mul_hi_u32 s1, s18, s26
	s_add_i32 s0, s1, s0
	s_mul_i32 s1, s19, s26
	s_add_i32 s33, s0, s1
	v_cmp_lt_u64_e64 s[0:1], s[10:11], 3
	s_mul_i32 s42, s18, s26
	s_and_b64 vcc, exec, s[0:1]
	s_cbranch_vccnz .LBB0_14
; %bb.5:
	s_add_u32 s30, s14, 16
	s_addc_u32 s31, s15, 0
	s_add_u32 s12, s12, 16
	s_addc_u32 s13, s13, 0
	s_mov_b64 s[34:35], 2
	s_mov_b32 s36, 0
	v_mov_b64_e32 v[2:3], s[10:11]
.LBB0_6:                                ; =>This Inner Loop Header: Depth=1
	s_load_dwordx2 s[38:39], s[12:13], 0x0
	s_waitcnt lgkmcnt(0)
	s_or_b64 s[0:1], s[28:29], s[38:39]
	s_mov_b32 s37, s1
	s_cmp_lg_u64 s[36:37], 0
	s_cbranch_scc0 .LBB0_11
; %bb.7:                                ;   in Loop: Header=BB0_6 Depth=1
	v_cvt_f32_u32_e32 v1, s38
	v_cvt_f32_u32_e32 v4, s39
	s_sub_u32 s0, 0, s38
	s_subb_u32 s1, 0, s39
	v_fmac_f32_e32 v1, 0x4f800000, v4
	v_rcp_f32_e32 v1, v1
	s_nop 0
	v_mul_f32_e32 v1, 0x5f7ffffc, v1
	v_mul_f32_e32 v4, 0x2f800000, v1
	v_trunc_f32_e32 v4, v4
	v_fmac_f32_e32 v1, 0xcf800000, v4
	v_cvt_u32_f32_e32 v4, v4
	v_cvt_u32_f32_e32 v1, v1
	v_readfirstlane_b32 s37, v4
	v_readfirstlane_b32 s40, v1
	s_mul_i32 s41, s0, s37
	s_mul_hi_u32 s44, s0, s40
	s_mul_i32 s43, s1, s40
	s_add_i32 s41, s44, s41
	s_mul_i32 s45, s0, s40
	s_add_i32 s41, s41, s43
	s_mul_hi_u32 s43, s40, s41
	s_mul_i32 s44, s40, s41
	s_mul_hi_u32 s40, s40, s45
	s_add_u32 s40, s40, s44
	s_addc_u32 s43, 0, s43
	s_mul_hi_u32 s46, s37, s45
	s_mul_i32 s45, s37, s45
	s_add_u32 s40, s40, s45
	s_mul_hi_u32 s44, s37, s41
	s_addc_u32 s40, s43, s46
	s_addc_u32 s43, s44, 0
	s_mul_i32 s41, s37, s41
	s_add_u32 s40, s40, s41
	s_addc_u32 s41, 0, s43
	v_add_co_u32_e32 v1, vcc, s40, v1
	s_cmp_lg_u64 vcc, 0
	s_addc_u32 s37, s37, s41
	v_readfirstlane_b32 s41, v1
	s_mul_i32 s40, s0, s37
	s_mul_hi_u32 s43, s0, s41
	s_add_i32 s40, s43, s40
	s_mul_i32 s1, s1, s41
	s_add_i32 s40, s40, s1
	s_mul_i32 s0, s0, s41
	s_mul_hi_u32 s43, s37, s0
	s_mul_i32 s44, s37, s0
	s_mul_i32 s46, s41, s40
	s_mul_hi_u32 s0, s41, s0
	s_mul_hi_u32 s45, s41, s40
	s_add_u32 s0, s0, s46
	s_addc_u32 s41, 0, s45
	s_add_u32 s0, s0, s44
	s_mul_hi_u32 s1, s37, s40
	s_addc_u32 s0, s41, s43
	s_addc_u32 s1, s1, 0
	s_mul_i32 s40, s37, s40
	s_add_u32 s0, s0, s40
	s_addc_u32 s1, 0, s1
	v_add_co_u32_e32 v1, vcc, s0, v1
	s_cmp_lg_u64 vcc, 0
	s_addc_u32 s0, s37, s1
	v_readfirstlane_b32 s40, v1
	s_mul_i32 s37, s28, s0
	s_mul_hi_u32 s41, s28, s40
	s_mul_hi_u32 s1, s28, s0
	s_add_u32 s37, s41, s37
	s_addc_u32 s1, 0, s1
	s_mul_hi_u32 s43, s29, s40
	s_mul_i32 s40, s29, s40
	s_add_u32 s37, s37, s40
	s_mul_hi_u32 s41, s29, s0
	s_addc_u32 s1, s1, s43
	s_addc_u32 s37, s41, 0
	s_mul_i32 s0, s29, s0
	s_add_u32 s40, s1, s0
	s_addc_u32 s37, 0, s37
	s_mul_i32 s0, s38, s37
	s_mul_hi_u32 s1, s38, s40
	s_add_i32 s0, s1, s0
	s_mul_i32 s1, s39, s40
	s_add_i32 s41, s0, s1
	s_mul_i32 s1, s38, s40
	v_mov_b32_e32 v1, s1
	s_sub_i32 s0, s29, s41
	v_sub_co_u32_e32 v1, vcc, s28, v1
	s_cmp_lg_u64 vcc, 0
	s_subb_u32 s43, s0, s39
	v_subrev_co_u32_e64 v4, s[0:1], s38, v1
	s_cmp_lg_u64 s[0:1], 0
	s_subb_u32 s0, s43, 0
	s_cmp_ge_u32 s0, s39
	v_readfirstlane_b32 s43, v4
	s_cselect_b32 s1, -1, 0
	s_cmp_ge_u32 s43, s38
	s_cselect_b32 s43, -1, 0
	s_cmp_eq_u32 s0, s39
	s_cselect_b32 s0, s43, s1
	s_add_u32 s1, s40, 1
	s_addc_u32 s43, s37, 0
	s_add_u32 s44, s40, 2
	s_addc_u32 s45, s37, 0
	s_cmp_lg_u32 s0, 0
	s_cselect_b32 s0, s44, s1
	s_cselect_b32 s1, s45, s43
	s_cmp_lg_u64 vcc, 0
	s_subb_u32 s41, s29, s41
	s_cmp_ge_u32 s41, s39
	v_readfirstlane_b32 s44, v1
	s_cselect_b32 s43, -1, 0
	s_cmp_ge_u32 s44, s38
	s_cselect_b32 s44, -1, 0
	s_cmp_eq_u32 s41, s39
	s_cselect_b32 s41, s44, s43
	s_cmp_lg_u32 s41, 0
	s_cselect_b32 s1, s1, s37
	s_cselect_b32 s0, s0, s40
	s_cbranch_execnz .LBB0_9
.LBB0_8:                                ;   in Loop: Header=BB0_6 Depth=1
	v_cvt_f32_u32_e32 v1, s38
	s_sub_i32 s0, 0, s38
	v_rcp_iflag_f32_e32 v1, v1
	s_nop 0
	v_mul_f32_e32 v1, 0x4f7ffffe, v1
	v_cvt_u32_f32_e32 v1, v1
	s_nop 0
	v_readfirstlane_b32 s1, v1
	s_mul_i32 s0, s0, s1
	s_mul_hi_u32 s0, s1, s0
	s_add_i32 s1, s1, s0
	s_mul_hi_u32 s0, s28, s1
	s_mul_i32 s37, s0, s38
	s_sub_i32 s37, s28, s37
	s_add_i32 s1, s0, 1
	s_sub_i32 s40, s37, s38
	s_cmp_ge_u32 s37, s38
	s_cselect_b32 s0, s1, s0
	s_cselect_b32 s37, s40, s37
	s_add_i32 s1, s0, 1
	s_cmp_ge_u32 s37, s38
	s_cselect_b32 s0, s1, s0
	s_mov_b32 s1, s36
.LBB0_9:                                ;   in Loop: Header=BB0_6 Depth=1
	s_mul_i32 s9, s38, s9
	s_mul_hi_u32 s37, s38, s8
	s_add_i32 s9, s37, s9
	s_mul_i32 s37, s39, s8
	s_add_i32 s9, s9, s37
	s_mul_i32 s37, s0, s39
	s_mul_hi_u32 s39, s0, s38
	s_load_dwordx2 s[40:41], s[30:31], 0x0
	s_add_i32 s37, s39, s37
	s_mul_i32 s39, s1, s38
	s_mul_i32 s8, s38, s8
	s_add_i32 s37, s37, s39
	s_mul_i32 s38, s0, s38
	s_sub_u32 s28, s28, s38
	s_subb_u32 s29, s29, s37
	s_waitcnt lgkmcnt(0)
	s_mul_i32 s29, s40, s29
	s_mul_hi_u32 s37, s40, s28
	s_add_i32 s29, s37, s29
	s_mul_i32 s37, s41, s28
	s_add_i32 s29, s29, s37
	s_mul_i32 s28, s40, s28
	s_add_u32 s42, s28, s42
	s_addc_u32 s33, s29, s33
	s_add_u32 s34, s34, 1
	s_addc_u32 s35, s35, 0
	;; [unrolled: 2-line block ×3, first 2 shown]
	s_add_u32 s12, s12, 8
	v_cmp_ge_u64_e32 vcc, s[34:35], v[2:3]
	s_addc_u32 s13, s13, 0
	s_cbranch_vccnz .LBB0_12
; %bb.10:                               ;   in Loop: Header=BB0_6 Depth=1
	s_mov_b64 s[28:29], s[0:1]
	s_branch .LBB0_6
.LBB0_11:                               ;   in Loop: Header=BB0_6 Depth=1
                                        ; implicit-def: $sgpr0_sgpr1
	s_branch .LBB0_8
.LBB0_12:
	v_mov_b64_e32 v[2:3], s[8:9]
	v_cmp_lt_u64_e32 vcc, s[2:3], v[2:3]
	s_mov_b64 s[28:29], 0
	s_cbranch_vccnz .LBB0_14
; %bb.13:
	v_cvt_f32_u32_e32 v1, s8
	s_sub_i32 s0, 0, s8
	v_rcp_iflag_f32_e32 v1, v1
	s_nop 0
	v_mul_f32_e32 v1, 0x4f7ffffe, v1
	v_cvt_u32_f32_e32 v1, v1
	s_nop 0
	v_readfirstlane_b32 s1, v1
	s_mul_i32 s0, s0, s1
	s_mul_hi_u32 s0, s1, s0
	s_add_i32 s1, s1, s0
	s_mul_hi_u32 s0, s2, s1
	s_mul_i32 s3, s0, s8
	s_sub_i32 s2, s2, s3
	s_add_i32 s1, s0, 1
	s_sub_i32 s3, s2, s8
	s_cmp_ge_u32 s2, s8
	s_cselect_b32 s0, s1, s0
	s_cselect_b32 s2, s3, s2
	s_add_i32 s1, s0, 1
	s_cmp_ge_u32 s2, s8
	s_cselect_b32 s28, s1, s0
.LBB0_14:
	s_lshl_b64 s[0:1], s[10:11], 3
	s_add_u32 s0, s14, s0
	s_addc_u32 s1, s15, s1
	s_load_dwordx2 s[0:1], s[0:1], 0x0
	s_mov_b32 s2, 0x15555556
	v_mul_hi_u32 v66, v0, s2
	v_mul_u32_u24_e32 v1, 12, v66
	v_sub_u32_e32 v2, v0, v1
	s_waitcnt lgkmcnt(0)
	s_mul_i32 s1, s1, s28
	s_mul_hi_u32 s2, s0, s28
	s_mul_i32 s0, s0, s28
	s_add_i32 s2, s2, s1
	s_add_u32 s10, s0, s42
	s_addc_u32 s11, s2, s33
	s_add_u32 s12, s26, 12
	v_mov_b32_e32 v4, 0
	s_addc_u32 s13, s27, 0
	v_mov_b64_e32 v[6:7], s[24:25]
	v_mad_u64_u32 v[12:13], s[0:1], s18, v2, 0
	v_mov_b32_e32 v3, v4
	v_cmp_le_u64_e32 vcc, s[12:13], v[6:7]
	v_mov_b32_e32 v6, v13
	v_lshl_add_u64 v[22:23], s[26:27], 0, v[2:3]
	v_mad_u64_u32 v[6:7], s[0:1], s19, v2, v[6:7]
	v_cmp_gt_u64_e64 s[0:1], s[24:25], v[22:23]
	v_mov_b32_e32 v13, v6
	s_or_b64 s[2:3], vcc, s[0:1]
	v_mov_b32_e32 v6, 0
	v_mov_b32_e32 v7, 0
	s_and_saveexec_b64 s[8:9], s[2:3]
	s_cbranch_execz .LBB0_16
; %bb.15:
	v_mul_lo_u32 v1, s16, v66
	v_add3_u32 v6, s10, v12, v1
	v_mov_b32_e32 v7, v4
	v_lshl_add_u64 v[6:7], v[6:7], 3, s[20:21]
	global_load_dwordx2 v[6:7], v[6:7], off
.LBB0_16:
	s_or_b64 exec, exec, s[8:9]
	v_add_u32_e32 v67, 40, v66
	v_mov_b32_e32 v5, 0
	s_and_saveexec_b64 s[8:9], s[2:3]
	s_cbranch_execz .LBB0_18
; %bb.17:
	v_mul_lo_u32 v1, s16, v67
	v_add3_u32 v4, s10, v12, v1
	v_mov_b32_e32 v5, 0
	v_lshl_add_u64 v[4:5], v[4:5], 3, s[20:21]
	global_load_dwordx2 v[4:5], v[4:5], off
.LBB0_18:
	s_or_b64 exec, exec, s[8:9]
	v_mov_b32_e32 v8, 0
	v_mov_b32_e32 v10, 0
	;; [unrolled: 1-line block ×3, first 2 shown]
	s_and_saveexec_b64 s[8:9], s[2:3]
	s_cbranch_execz .LBB0_20
; %bb.19:
	v_add_u32_e32 v1, 0x50, v66
	v_mul_lo_u32 v1, s16, v1
	v_add3_u32 v10, s10, v12, v1
	v_mov_b32_e32 v11, 0
	v_lshl_add_u64 v[10:11], v[10:11], 3, s[20:21]
	global_load_dwordx2 v[10:11], v[10:11], off
.LBB0_20:
	s_or_b64 exec, exec, s[8:9]
	v_mov_b32_e32 v9, 0
	s_and_saveexec_b64 s[8:9], s[2:3]
	s_cbranch_execz .LBB0_22
; %bb.21:
	v_add_u32_e32 v1, 0x78, v66
	v_mul_lo_u32 v1, s16, v1
	v_add3_u32 v8, s10, v12, v1
	v_mov_b32_e32 v9, 0
	v_lshl_add_u64 v[8:9], v[8:9], 3, s[20:21]
	global_load_dwordx2 v[8:9], v[8:9], off
.LBB0_22:
	s_or_b64 exec, exec, s[8:9]
	v_add_u32_e32 v68, 16, v66
	v_mov_b32_e32 v28, 0
	v_mov_b32_e32 v30, 0
	;; [unrolled: 1-line block ×3, first 2 shown]
	s_and_saveexec_b64 s[8:9], s[2:3]
	s_cbranch_execz .LBB0_24
; %bb.23:
	v_mul_lo_u32 v1, s16, v68
	v_add3_u32 v14, s10, v12, v1
	v_mov_b32_e32 v15, 0
	v_lshl_add_u64 v[14:15], v[14:15], 3, s[20:21]
	global_load_dwordx2 v[30:31], v[14:15], off
.LBB0_24:
	s_or_b64 exec, exec, s[8:9]
	v_mov_b32_e32 v29, 0
	s_and_saveexec_b64 s[8:9], s[2:3]
	s_cbranch_execz .LBB0_26
; %bb.25:
	v_add_u32_e32 v1, 56, v66
	v_mul_lo_u32 v1, s16, v1
	v_add3_u32 v14, s10, v12, v1
	v_mov_b32_e32 v15, 0
	v_lshl_add_u64 v[14:15], v[14:15], 3, s[20:21]
	global_load_dwordx2 v[28:29], v[14:15], off
.LBB0_26:
	s_or_b64 exec, exec, s[8:9]
	v_mov_b32_e32 v24, 0
	v_mov_b32_e32 v26, 0
	;; [unrolled: 1-line block ×3, first 2 shown]
	s_and_saveexec_b64 s[8:9], s[2:3]
	s_cbranch_execz .LBB0_28
; %bb.27:
	v_or_b32_e32 v1, 0x60, v66
	v_mul_lo_u32 v1, s16, v1
	v_add3_u32 v14, s10, v12, v1
	v_mov_b32_e32 v15, 0
	v_lshl_add_u64 v[14:15], v[14:15], 3, s[20:21]
	global_load_dwordx2 v[26:27], v[14:15], off
.LBB0_28:
	s_or_b64 exec, exec, s[8:9]
	v_mov_b32_e32 v25, 0
	s_and_saveexec_b64 s[8:9], s[2:3]
	s_cbranch_execz .LBB0_30
; %bb.29:
	v_add_u32_e32 v1, 0x88, v66
	v_mul_lo_u32 v1, s16, v1
	v_add3_u32 v14, s10, v12, v1
	v_mov_b32_e32 v15, 0
	v_lshl_add_u64 v[14:15], v[14:15], 3, s[20:21]
	global_load_dwordx2 v[24:25], v[14:15], off
.LBB0_30:
	s_or_b64 exec, exec, s[8:9]
	v_or_b32_e32 v23, 32, v66
	v_mad_u64_u32 v[14:15], s[2:3], s16, v23, 0
	v_mov_b32_e32 v16, v15
	v_mad_u64_u32 v[16:17], s[2:3], s17, v23, v[16:17]
	s_movk_i32 s2, 0x60
	s_movk_i32 s3, 0x5f
	v_cmp_lt_u32_e64 s[8:9], s3, v0
	v_cmp_gt_u32_e64 s[2:3], s2, v0
	v_cndmask_b32_e64 v1, 0, 1, s[0:1]
	s_or_b64 vcc, s[8:9], vcc
	v_cndmask_b32_e64 v0, 0, 1, s[2:3]
	v_cndmask_b32_e32 v0, v1, v0, vcc
	v_and_b32_e32 v0, 1, v0
	v_mov_b32_e32 v15, v16
	v_cmp_eq_u32_e32 vcc, 1, v0
	v_mov_b32_e32 v0, 0
	v_mov_b32_e32 v32, 0
	;; [unrolled: 1-line block ×3, first 2 shown]
	s_and_saveexec_b64 s[8:9], vcc
	s_cbranch_execz .LBB0_32
; %bb.31:
	v_add3_u32 v16, s10, v12, v14
	v_mov_b32_e32 v17, 0
	v_lshl_add_u64 v[16:17], v[16:17], 3, s[20:21]
	global_load_dwordx2 v[32:33], v[16:17], off
.LBB0_32:
	s_or_b64 exec, exec, s[8:9]
	v_add_u32_e32 v1, 0x48, v66
	v_mad_u64_u32 v[16:17], s[8:9], s16, v1, 0
	v_mov_b32_e32 v18, v17
	v_mad_u64_u32 v[18:19], s[8:9], s17, v1, v[18:19]
	v_mov_b32_e32 v17, v18
	v_mov_b32_e32 v1, 0
	s_and_saveexec_b64 s[8:9], vcc
	s_cbranch_execz .LBB0_34
; %bb.33:
	v_add3_u32 v0, s10, v12, v16
	v_mov_b32_e32 v1, 0
	v_lshl_add_u64 v[0:1], v[0:1], 3, s[20:21]
	global_load_dwordx2 v[0:1], v[0:1], off
.LBB0_34:
	s_or_b64 exec, exec, s[8:9]
	v_add_u32_e32 v3, 0x70, v66
	v_mad_u64_u32 v[18:19], s[8:9], s16, v3, 0
	v_mov_b32_e32 v20, v19
	v_mad_u64_u32 v[20:21], s[8:9], s17, v3, v[20:21]
	v_mov_b32_e32 v19, v20
	v_mov_b32_e32 v36, 0
	;; [unrolled: 1-line block ×4, first 2 shown]
	s_and_saveexec_b64 s[8:9], vcc
	s_cbranch_execz .LBB0_36
; %bb.35:
	v_add3_u32 v20, s10, v12, v18
	v_mov_b32_e32 v21, 0
	v_lshl_add_u64 v[20:21], v[20:21], 3, s[20:21]
	global_load_dwordx2 v[34:35], v[20:21], off
.LBB0_36:
	s_or_b64 exec, exec, s[8:9]
	v_add_u32_e32 v3, 0x98, v66
	v_mad_u64_u32 v[20:21], s[8:9], s16, v3, 0
	v_mov_b32_e32 v38, v21
	v_mad_u64_u32 v[38:39], s[8:9], s17, v3, v[38:39]
	v_mov_b32_e32 v21, v38
	v_mov_b32_e32 v37, 0
	s_and_saveexec_b64 s[8:9], vcc
	s_cbranch_execz .LBB0_38
; %bb.37:
	v_add3_u32 v36, s10, v12, v20
	v_mov_b32_e32 v37, 0
	v_lshl_add_u64 v[36:37], v[36:37], 3, s[20:21]
	global_load_dwordx2 v[36:37], v[36:37], off
.LBB0_38:
	s_or_b64 exec, exec, s[8:9]
	s_waitcnt vmcnt(0)
	v_pk_add_f32 v[40:41], v[4:5], v[8:9] neg_lo:[0,1] neg_hi:[0,1]
	v_pk_add_f32 v[8:9], v[32:33], v[34:35] neg_lo:[0,1] neg_hi:[0,1]
	;; [unrolled: 1-line block ×3, first 2 shown]
	v_add_f32_e32 v11, v33, v33
	v_mov_b32_e32 v10, v32
	v_mov_b32_e32 v35, v9
	v_pk_add_f32 v[42:43], v[30:31], v[26:27] neg_lo:[0,1] neg_hi:[0,1]
	v_pk_add_f32 v[26:27], v[0:1], v[36:37] neg_lo:[0,1] neg_hi:[0,1]
	;; [unrolled: 1-line block ×3, first 2 shown]
	v_fma_f32 v33, v1, 2.0, -v27
	v_fma_f32 v8, v32, 2.0, -v10
	v_mov_b32_e32 v32, v27
	v_pk_add_f32 v[44:45], v[28:29], v[24:25] neg_lo:[0,1] neg_hi:[0,1]
	v_fma_f32 v0, v0, 2.0, -v26
	v_pk_add_f32 v[24:25], v[10:11], v[32:33]
	v_pk_add_f32 v[32:33], v[10:11], v[32:33] neg_lo:[0,1] neg_hi:[0,1]
	v_mov_b32_e32 v1, v26
	v_mov_b32_e32 v25, v33
	v_pk_add_f32 v[26:27], v[8:9], v[0:1] neg_lo:[0,1] neg_hi:[0,1]
	v_mul_u32_u24_e32 v0, 48, v66
	v_pk_fma_f32 v[6:7], v[6:7], 2.0, v[38:39] op_sel_hi:[1,0,1] neg_lo:[0,0,1] neg_hi:[0,0,1]
	v_pk_fma_f32 v[4:5], v[4:5], 2.0, v[40:41] op_sel_hi:[1,0,1] neg_lo:[0,0,1] neg_hi:[0,0,1]
	v_pk_add_f32 v[32:33], v[38:39], v[40:41] op_sel:[0,1] op_sel_hi:[1,0]
	v_pk_add_f32 v[34:35], v[38:39], v[40:41] op_sel:[0,1] op_sel_hi:[1,0] neg_lo:[0,1] neg_hi:[0,1]
	v_lshl_add_u32 v1, v0, 3, 0
	v_lshlrev_b32_e32 v0, 3, v2
	v_pk_add_f32 v[4:5], v[6:7], v[4:5] neg_lo:[0,1] neg_hi:[0,1]
	v_mov_b32_e32 v33, v35
	v_add_u32_e32 v3, v1, v0
	v_pk_fma_f32 v[6:7], v[6:7], 2.0, v[4:5] op_sel_hi:[1,0,1] neg_lo:[0,0,1] neg_hi:[0,0,1]
	v_pk_fma_f32 v[34:35], v[38:39], 2.0, v[32:33] op_sel_hi:[1,0,1] neg_lo:[0,0,1] neg_hi:[0,0,1]
	ds_write2_b64 v3, v[6:7], v[34:35] offset1:12
	ds_write2_b64 v3, v[4:5], v[32:33] offset0:24 offset1:36
	v_pk_fma_f32 v[4:5], v[30:31], 2.0, v[42:43] op_sel_hi:[1,0,1] neg_lo:[0,0,1] neg_hi:[0,0,1]
	v_pk_fma_f32 v[6:7], v[28:29], 2.0, v[44:45] op_sel_hi:[1,0,1] neg_lo:[0,0,1] neg_hi:[0,0,1]
	v_pk_add_f32 v[28:29], v[42:43], v[44:45] op_sel:[0,1] op_sel_hi:[1,0]
	v_pk_add_f32 v[30:31], v[42:43], v[44:45] op_sel:[0,1] op_sel_hi:[1,0] neg_lo:[0,1] neg_hi:[0,1]
	v_add_u32_e32 v3, 0x1800, v1
	v_pk_add_f32 v[6:7], v[4:5], v[6:7] neg_lo:[0,1] neg_hi:[0,1]
	v_mov_b32_e32 v29, v31
	v_add_u32_e32 v32, v3, v0
	v_pk_fma_f32 v[4:5], v[4:5], 2.0, v[6:7] op_sel_hi:[1,0,1] neg_lo:[0,0,1] neg_hi:[0,0,1]
	v_pk_fma_f32 v[30:31], v[42:43], 2.0, v[28:29] op_sel_hi:[1,0,1] neg_lo:[0,0,1] neg_hi:[0,0,1]
	ds_write2_b64 v32, v[4:5], v[30:31] offset1:12
	ds_write2_b64 v32, v[6:7], v[28:29] offset0:24 offset1:36
	s_and_saveexec_b64 s[8:9], s[6:7]
	s_cbranch_execz .LBB0_40
; %bb.39:
	v_lshl_add_u32 v2, v2, 3, v3
	v_mov_b32_e32 v4, v8
	v_mov_b32_e32 v5, v11
	;; [unrolled: 1-line block ×7, first 2 shown]
	v_pk_fma_f32 v[4:5], v[4:5], 2.0, v[6:7] op_sel_hi:[1,0,1] neg_lo:[0,0,1] neg_hi:[0,0,1]
	v_pk_fma_f32 v[10:11], v[10:11], 2.0, v[8:9] op_sel_hi:[1,0,1] neg_lo:[0,0,1] neg_hi:[0,0,1]
	v_add_u32_e32 v2, 0x1800, v2
	ds_write2_b64 v2, v[4:5], v[10:11] offset1:12
	ds_write2_b64 v2, v[6:7], v[8:9] offset0:24 offset1:36
.LBB0_40:
	s_or_b64 exec, exec, s[8:9]
	v_and_b32_e32 v2, 3, v66
	v_mul_u32_u24_e32 v4, 9, v2
	v_lshlrev_b32_e32 v38, 3, v4
	s_waitcnt lgkmcnt(0)
	s_barrier
	global_load_dwordx4 v[4:7], v38, s[22:23] offset:48
	global_load_dwordx4 v[8:11], v38, s[22:23]
	global_load_dwordx4 v[28:31], v38, s[22:23] offset:16
	global_load_dwordx4 v[32:35], v38, s[22:23] offset:32
	global_load_dwordx2 v[36:37], v38, s[22:23] offset:64
	v_mul_i32_i24_e32 v39, 0xfffffee0, v68
	v_mul_i32_i24_e32 v38, 0xfffffee0, v66
	v_lshrrev_b32_e32 v40, 2, v66
	v_add3_u32 v39, v3, v39, v0
	v_add3_u32 v38, v1, v38, v0
	v_mul_u32_u24_e32 v1, 40, v40
	ds_read2st64_b64 v[40:43], v39 offset1:3
	ds_read2st64_b64 v[44:47], v38 offset1:9
	ds_read2st64_b64 v[48:51], v38 offset0:12 offset1:15
	ds_read2st64_b64 v[52:55], v38 offset0:18 offset1:21
	;; [unrolled: 1-line block ×3, first 2 shown]
	v_or_b32_e32 v1, v1, v2
	v_mul_u32_u24_e32 v1, 0x60, v1
	v_add3_u32 v69, 0, v1, v0
	s_waitcnt lgkmcnt(1)
	v_mov_b32_e32 v0, v55
	s_waitcnt lgkmcnt(0)
	v_mov_b32_e32 v2, v59
	s_mov_b32 s6, 0x3e9e377a
	s_mov_b32 s7, 0x3f167918
	;; [unrolled: 1-line block ×11, first 2 shown]
	s_barrier
	s_waitcnt vmcnt(4)
	v_pk_mul_f32 v[60:61], v[54:55], v[4:5]
	v_mov_b32_e32 v62, v5
	s_waitcnt vmcnt(3)
	v_pk_mul_f32 v[64:65], v[8:9], v[40:41] op_sel:[0,1]
	v_pk_mul_f32 v[70:71], v[10:11], v[42:43] op_sel:[0,1]
	s_waitcnt vmcnt(2)
	v_pk_mul_f32 v[72:73], v[28:29], v[46:47] op_sel:[0,1]
	v_pk_mul_f32 v[74:75], v[30:31], v[48:49] op_sel:[0,1]
	s_waitcnt vmcnt(1)
	v_pk_mul_f32 v[76:77], v[32:33], v[50:51] op_sel:[0,1]
	s_waitcnt vmcnt(0)
	v_pk_mul_f32 v[78:79], v[58:59], v[36:37]
	v_mov_b32_e32 v82, v35
	v_mov_b32_e32 v80, v37
	v_mov_b32_e32 v84, v7
	v_pk_fma_f32 v[86:87], v[8:9], v[40:41], v[64:65] op_sel:[0,0,1] op_sel_hi:[1,0,0]
	v_pk_fma_f32 v[8:9], v[8:9], v[40:41], v[64:65] op_sel:[0,0,1] op_sel_hi:[1,0,0] neg_lo:[1,0,0] neg_hi:[1,0,0]
	v_pk_fma_f32 v[40:41], v[10:11], v[42:43], v[70:71] op_sel:[0,0,1] op_sel_hi:[1,1,0]
	v_pk_fma_f32 v[10:11], v[10:11], v[42:43], v[70:71] op_sel:[0,0,1] op_sel_hi:[1,0,0] neg_lo:[1,0,0] neg_hi:[1,0,0]
	;; [unrolled: 2-line block ×5, first 2 shown]
	v_mov_b32_e32 v50, v78
	v_mov_b32_e32 v51, v60
	;; [unrolled: 1-line block ×3, first 2 shown]
	v_pk_mul_f32 v[54:55], v[54:55], v[62:63]
	v_pk_mul_f32 v[62:63], v[52:53], v[82:83] op_sel_hi:[1,0]
	v_pk_mul_f32 v[58:59], v[58:59], v[80:81]
	v_pk_mul_f32 v[64:65], v[56:57], v[84:85] op_sel_hi:[1,0]
	v_pk_fma_f32 v[0:1], v[0:1], v[4:5], v[54:55] neg_lo:[0,0,1] neg_hi:[0,0,1]
	v_pk_add_f32 v[4:5], v[50:51], v[60:61]
	v_mov_b32_e32 v47, v31
	v_pk_fma_f32 v[30:31], v[52:53], v[34:35], v[62:63] op_sel:[0,0,1] op_sel_hi:[1,1,0]
	v_pk_fma_f32 v[34:35], v[52:53], v[34:35], v[62:63] op_sel:[0,0,1] op_sel_hi:[1,0,0] neg_lo:[0,0,1] neg_hi:[0,0,1]
	v_pk_fma_f32 v[2:3], v[2:3], v[36:37], v[58:59] neg_lo:[0,0,1] neg_hi:[0,0,1]
	v_pk_fma_f32 v[36:37], v[56:57], v[6:7], v[64:65] op_sel:[0,0,1] op_sel_hi:[1,1,0]
	v_pk_fma_f32 v[6:7], v[56:57], v[6:7], v[64:65] op_sel:[0,0,1] op_sel_hi:[1,0,0] neg_lo:[0,0,1] neg_hi:[0,0,1]
	v_mov_b32_e32 v34, v42
	v_mov_b32_e32 v50, v48
	;; [unrolled: 1-line block ×6, first 2 shown]
	v_pk_add_f32 v[60:61], v[34:35], v[50:51] neg_lo:[0,1] neg_hi:[0,1]
	v_mov_b32_e32 v8, v33
	v_pk_add_f32 v[54:55], v[6:7], v[2:3] neg_lo:[0,1] neg_hi:[0,1]
	v_mov_b32_e32 v6, v61
	v_add_f32_e32 v28, v48, v5
	v_pk_add_f32 v[56:57], v[8:9], v[0:1] neg_lo:[0,1] neg_hi:[0,1]
	v_pk_add_f32 v[60:61], v[60:61], v[6:7]
	v_fma_f32 v1, -0.5, v28, v86
	v_mov_b32_e32 v61, v56
	v_fmamk_f32 v3, v54, 0xbf737871, v1
	v_pk_mul_f32 v[60:61], v[60:61], s[6:7]
	v_fmac_f32_e32 v1, 0x3f737871, v54
	v_pk_add_f32 v[34:35], v[50:51], v[34:35] neg_lo:[0,1] neg_hi:[0,1]
	v_sub_f32_e32 v3, v3, v61
	v_add_f32_e32 v1, v61, v1
	v_mov_b32_e32 v28, v35
	v_add_f32_e32 v6, v60, v3
	v_add_f32_e32 v8, v60, v1
	v_add_f32_e32 v1, v42, v4
	v_mov_b32_e32 v3, v86
	v_pk_add_f32 v[34:35], v[34:35], v[28:29]
	v_fmac_f32_e32 v3, -0.5, v1
	v_mov_b32_e32 v35, v54
	v_fmamk_f32 v1, v56, 0x3f737871, v3
	v_pk_mul_f32 v[34:35], v[34:35], s[6:7]
	v_fmac_f32_e32 v3, 0xbf737871, v56
	v_sub_f32_e32 v1, v1, v35
	v_mov_b32_e32 v87, v9
	v_mov_b32_e32 v43, v29
	v_add_f32_e32 v32, v34, v1
	v_add_f32_e32 v1, v35, v3
	v_mov_b32_e32 v49, v33
	v_add_f32_e32 v28, v34, v1
	v_pk_add_f32 v[34:35], v[86:87], v[42:43]
	v_mov_b32_e32 v50, v5
	v_pk_add_f32 v[34:35], v[34:35], v[48:49]
	v_mov_b32_e32 v51, v0
	v_mov_b32_e32 v10, v5
	v_pk_add_f32 v[34:35], v[34:35], v[50:51]
	v_mov_b32_e32 v50, v4
	v_mov_b32_e32 v51, v2
	v_pk_add_f32 v[34:35], v[34:35], v[50:51]
	v_add_f32_e32 v1, v33, v0
	v_pk_add_f32 v[4:5], v[42:43], v[4:5] neg_lo:[0,1] neg_hi:[0,1]
	v_pk_add_f32 v[42:43], v[48:49], v[10:11] neg_lo:[0,1] neg_hi:[0,1]
	v_mov_b32_e32 v48, v29
	v_mov_b32_e32 v49, v2
	;; [unrolled: 1-line block ×4, first 2 shown]
	v_fma_f32 v3, -0.5, v1, v9
	v_pk_add_f32 v[0:1], v[48:49], v[50:51] neg_lo:[0,1] neg_hi:[0,1]
	v_fmamk_f32 v5, v4, 0x3f737871, v3
	v_mov_b32_e32 v10, v1
	v_pk_add_f32 v[0:1], v[0:1], v[10:11]
	v_fmac_f32_e32 v3, 0xbf737871, v4
	v_mov_b32_e32 v1, v42
	v_pk_mul_f32 v[0:1], v[0:1], s[6:7]
	v_mov_b32_e32 v41, v11
	v_add_f32_e32 v5, v1, v5
	v_sub_f32_e32 v1, v3, v1
	v_add_f32_e32 v10, v0, v5
	v_add_f32_e32 v0, v0, v1
	;; [unrolled: 1-line block ×3, first 2 shown]
	v_pk_add_f32 v[2:3], v[50:51], v[48:49] neg_lo:[0,1] neg_hi:[0,1]
	v_fmac_f32_e32 v9, -0.5, v1
	v_mov_b32_e32 v48, v3
	v_pk_add_f32 v[2:3], v[2:3], v[48:49]
	v_fmamk_f32 v1, v42, 0xbf737871, v9
	v_mov_b32_e32 v3, v4
	v_pk_mul_f32 v[2:3], v[2:3], s[6:7]
	v_fmac_f32_e32 v9, 0x3f737871, v42
	v_add_f32_e32 v1, v3, v1
	v_add_f32_e32 v4, v2, v1
	v_sub_f32_e32 v1, v9, v3
	v_add_f32_e32 v2, v2, v1
	v_mov_b32_e32 v37, v7
	v_pk_add_f32 v[52:53], v[44:45], v[40:41]
	v_pk_mul_f32 v[2:3], v[2:3], s[18:19] op_sel_hi:[0,1]
	v_pk_add_f32 v[52:53], v[52:53], v[46:47]
	v_pk_add_f32 v[58:59], v[40:41], v[36:37]
	v_mov_b32_e32 v48, v11
	v_mov_b32_e32 v49, v40
	;; [unrolled: 1-line block ×4, first 2 shown]
	v_pk_fma_f32 v[2:3], v[28:29], s[8:9], v[2:3] op_sel_hi:[0,1,1] neg_lo:[0,0,1] neg_hi:[0,0,1]
	v_pk_add_f32 v[28:29], v[46:47], v[30:31]
	v_pk_add_f32 v[52:53], v[52:53], v[30:31]
	v_pk_add_f32 v[48:49], v[48:49], v[50:51] neg_lo:[0,1] neg_hi:[0,1]
	v_pk_fma_f32 v[50:51], v[58:59], 0.5, v[44:45] op_sel_hi:[1,0,1] neg_lo:[1,0,0] neg_hi:[1,0,0]
	v_pk_add_f32 v[54:55], v[46:47], v[40:41] neg_lo:[0,1] neg_hi:[0,1]
	v_pk_add_f32 v[56:57], v[30:31], v[36:37] neg_lo:[0,1] neg_hi:[0,1]
	v_pk_fma_f32 v[28:29], v[28:29], 0.5, v[44:45] op_sel_hi:[1,0,1] neg_lo:[1,0,0] neg_hi:[1,0,0]
	v_pk_add_f32 v[44:45], v[46:47], v[30:31] neg_lo:[0,1] neg_hi:[0,1]
	v_pk_mul_f32 v[10:11], v[10:11], s[28:29] op_sel_hi:[0,1]
	s_mov_b32 s8, s9
	v_pk_add_f32 v[52:53], v[52:53], v[36:37]
	v_pk_add_f32 v[54:55], v[54:55], v[56:57]
	v_pk_mul_f32 v[56:57], v[44:45], s[14:15] op_sel_hi:[1,0]
	v_pk_add_f32 v[40:41], v[40:41], v[46:47] neg_lo:[0,1] neg_hi:[0,1]
	v_pk_add_f32 v[30:31], v[36:37], v[30:31] neg_lo:[0,1] neg_hi:[0,1]
	v_pk_fma_f32 v[36:37], v[6:7], s[26:27], v[10:11] neg_lo:[0,0,1] neg_hi:[0,0,1]
	v_pk_fma_f32 v[6:7], v[6:7], s[26:27], v[10:11] op_sel_hi:[0,1,1]
	v_pk_fma_f32 v[10:11], v[48:49], s[8:9], v[28:29] op_sel_hi:[1,0,1] neg_lo:[1,0,0] neg_hi:[1,0,0]
	v_pk_fma_f32 v[28:29], v[48:49], s[8:9], v[28:29] op_sel_hi:[1,0,1]
	v_pk_add_f32 v[30:31], v[40:41], v[30:31]
	v_pk_add_f32 v[40:41], v[28:29], v[56:57] op_sel:[0,1] op_sel_hi:[1,0]
	v_pk_add_f32 v[10:11], v[10:11], v[56:57] op_sel:[0,1] op_sel_hi:[1,0] neg_lo:[0,1] neg_hi:[0,1]
	v_mov_b32_e32 v37, v7
	v_pk_mul_f32 v[6:7], v[44:45], s[8:9] op_sel_hi:[1,0]
	v_mov_b32_e32 v28, v10
	v_mov_b32_e32 v29, v41
	v_pk_fma_f32 v[44:45], v[30:31], s[6:7], v[28:29] op_sel_hi:[1,0,1]
	v_pk_add_f32 v[28:29], v[50:51], v[6:7] op_sel:[0,1] op_sel_hi:[1,0] neg_lo:[0,1] neg_hi:[0,1]
	v_pk_add_f32 v[6:7], v[50:51], v[6:7] op_sel:[0,1] op_sel_hi:[1,0]
	v_pk_add_f32 v[42:43], v[52:53], v[34:35]
	v_pk_fma_f32 v[6:7], v[48:49], s[14:15], v[6:7] op_sel_hi:[1,0,1] neg_lo:[1,0,0] neg_hi:[1,0,0]
	v_pk_fma_f32 v[46:47], v[48:49], s[14:15], v[28:29] op_sel_hi:[1,0,1]
	v_pk_add_f32 v[50:51], v[44:45], v[36:37]
	s_mov_b32 s8, s6
	v_pk_mul_f32 v[4:5], v[4:5], s[18:19] op_sel_hi:[0,1]
	v_mov_b32_e32 v28, v46
	v_mov_b32_e32 v29, v7
	ds_write2_b64 v69, v[42:43], v[50:51] offset1:48
	v_pk_fma_f32 v[42:43], v[32:33], s[8:9], v[4:5] neg_lo:[0,0,1] neg_hi:[0,0,1]
	v_pk_fma_f32 v[4:5], v[32:33], s[8:9], v[4:5] op_sel_hi:[0,1,1]
	v_mov_b32_e32 v7, v47
	v_pk_fma_f32 v[48:49], v[54:55], s[6:7], v[28:29] op_sel_hi:[1,0,1]
	v_mov_b32_e32 v43, v5
	v_pk_fma_f32 v[4:5], v[54:55], s[6:7], v[6:7] op_sel_hi:[1,0,1]
	v_pk_add_f32 v[28:29], v[48:49], v[2:3] neg_lo:[0,1] neg_hi:[0,1]
	v_pk_add_f32 v[6:7], v[4:5], v[42:43]
	v_pk_add_f32 v[2:3], v[48:49], v[2:3]
	s_mov_b32 s8, 0xbf4f1bbd
	s_mov_b32 s9, s7
	v_pk_mul_f32 v[0:1], v[0:1], s[28:29] op_sel_hi:[0,1]
	v_mov_b32_e32 v41, v11
	ds_write2_b64 v69, v[6:7], v[2:3] offset0:96 offset1:144
	v_pk_fma_f32 v[0:1], v[8:9], s[8:9], v[0:1] op_sel_hi:[0,1,1] neg_lo:[0,0,1] neg_hi:[0,0,1]
	v_pk_fma_f32 v[2:3], v[30:31], s[6:7], v[40:41] op_sel_hi:[1,0,1]
	v_pk_add_f32 v[8:9], v[52:53], v[34:35] neg_lo:[0,1] neg_hi:[0,1]
	v_pk_add_f32 v[6:7], v[2:3], v[0:1]
	ds_write2_b64 v69, v[6:7], v[8:9] offset0:192 offset1:240
	v_pk_add_f32 v[6:7], v[44:45], v[36:37] neg_lo:[0,1] neg_hi:[0,1]
	v_pk_add_f32 v[4:5], v[4:5], v[42:43] neg_lo:[0,1] neg_hi:[0,1]
	v_add_u32_e32 v8, 0x800, v69
	v_pk_add_f32 v[30:31], v[2:3], v[0:1] neg_lo:[0,1] neg_hi:[0,1]
	v_add_u32_e32 v0, 0x100, v38
	ds_write2_b64 v8, v[6:7], v[4:5] offset0:32 offset1:80
	ds_write2_b64 v8, v[28:29], v[30:31] offset0:128 offset1:176
	s_waitcnt lgkmcnt(0)
	s_barrier
	ds_read2st64_b64 v[8:11], v0 offset0:7 offset1:10
	ds_read2st64_b64 v[4:7], v38 offset0:15 offset1:18
	;; [unrolled: 1-line block ×3, first 2 shown]
	ds_read_b64 v[34:35], v38
	ds_read_b64 v[32:33], v39
	v_mov_b64_e32 v[36:37], s[24:25]
	s_and_saveexec_b64 s[6:7], s[4:5]
	s_xor_b64 s[4:5], exec, s[6:7]
; %bb.41:
                                        ; implicit-def: $vgpr39
                                        ; implicit-def: $vgpr38
; %bb.42:
	s_or_saveexec_b64 s[4:5], s[4:5]
	v_cmp_gt_u64_e32 vcc, s[12:13], v[36:37]
	s_xor_b64 exec, exec, s[4:5]
	s_cbranch_execz .LBB0_44
; %bb.43:
	ds_read_b64 v[26:27], v38 offset:10752
	ds_read_b64 v[36:37], v38 offset:14592
	v_add_u32_e32 v24, 0x600, v39
	ds_read_b64 v[28:29], v24
	ds_read_b64 v[30:31], v38 offset:6912
	s_waitcnt lgkmcnt(3)
	v_mov_b32_e32 v25, v27
	s_waitcnt lgkmcnt(2)
	v_mov_b32_e32 v24, v36
	v_mov_b32_e32 v27, v37
.LBB0_44:
	s_or_b64 exec, exec, s[4:5]
	v_mul_u32_u24_e32 v36, 3, v66
	v_lshlrev_b32_e32 v44, 3, v36
	global_load_dwordx2 v[42:43], v44, s[22:23] offset:304
	global_load_dwordx4 v[38:41], v44, s[22:23] offset:288
	s_mov_b32 s4, 0x6666667
	v_mul_hi_u32 v44, v23, s4
	v_mul_u32_u24_e32 v44, 40, v44
	v_sub_u32_e32 v23, v23, v44
	v_mul_u32_u24_e32 v44, 3, v23
	v_lshlrev_b32_e32 v58, 3, v44
	v_mul_lo_u32 v44, v66, v22
	v_lshrrev_b32_e32 v46, 2, v44
	v_mul_hi_u32 v69, v68, s4
	v_and_b32_e32 v45, 31, v44
	s_add_i32 s4, 0, 0x3c00
	v_and_b32_e32 v46, 0xf8, v46
	v_lshrrev_b32_e32 v47, 7, v44
	v_lshl_add_u32 v45, v45, 3, 0
	v_add_u32_e32 v46, s4, v46
	v_and_b32_e32 v47, 0xf8, v47
	v_mul_lo_u32 v61, v22, 40
	v_add_u32_e32 v48, s4, v47
	v_add_u32_e32 v52, v44, v61
	ds_read_b64 v[44:45], v45 offset:15360
	ds_read_b64 v[46:47], v46 offset:256
	v_and_b32_e32 v49, 31, v52
	v_lshl_add_u32 v50, v49, 3, 0
	ds_read_b64 v[48:49], v48 offset:512
	ds_read_b64 v[50:51], v50 offset:15360
	v_add_u32_e32 v54, v52, v61
	s_waitcnt lgkmcnt(2)
	v_mul_f32_e32 v53, v45, v47
	v_fma_f32 v53, v44, v46, -v53
	v_mul_f32_e32 v44, v44, v47
	v_fmac_f32_e32 v44, v45, v46
	s_waitcnt lgkmcnt(1)
	v_mul_f32_e32 v45, v44, v49
	v_fma_f32 v59, v48, v53, -v45
	v_mul_f32_e32 v60, v53, v49
	v_lshrrev_b32_e32 v45, 7, v52
	v_fmac_f32_e32 v60, v48, v44
	v_lshrrev_b32_e32 v44, 2, v52
	v_and_b32_e32 v45, 0xf8, v45
	v_and_b32_e32 v44, 0xf8, v44
	v_add_u32_e32 v46, s4, v45
	v_and_b32_e32 v45, 31, v54
	v_add_u32_e32 v44, s4, v44
	v_lshl_add_u32 v48, v45, 3, 0
	v_lshrrev_b32_e32 v45, 2, v54
	v_and_b32_e32 v47, 0xf8, v45
	ds_read_b64 v[44:45], v44 offset:256
	v_add_u32_e32 v52, s4, v47
	ds_read_b64 v[46:47], v46 offset:512
	ds_read_b64 v[48:49], v48 offset:15360
	;; [unrolled: 1-line block ×3, first 2 shown]
	v_mul_u32_u24_e32 v36, 40, v69
	v_sub_u32_e32 v55, v68, v36
	s_waitcnt lgkmcnt(3)
	v_mul_f32_e32 v56, v51, v45
	v_mul_f32_e32 v45, v50, v45
	v_fmac_f32_e32 v45, v51, v44
	v_fma_f32 v56, v50, v44, -v56
	s_waitcnt lgkmcnt(2)
	v_mul_f32_e32 v44, v45, v47
	v_fma_f32 v62, v46, v56, -v44
	v_mul_f32_e32 v63, v56, v47
	s_waitcnt lgkmcnt(0)
	v_mul_f32_e32 v44, v48, v52
	v_fmac_f32_e32 v63, v46, v45
	v_fma_f32 v56, -v49, v53, v44
	v_pk_mul_f32 v[44:45], v[48:49], v[52:53] op_sel:[1,0] op_sel_hi:[0,1]
	v_add_f32_e32 v53, v44, v45
	v_lshrrev_b32_e32 v44, 7, v54
	v_add_u32_e32 v45, v54, v61
	v_and_b32_e32 v44, 0xf8, v44
	v_lshrrev_b32_e32 v47, 2, v45
	v_add_u32_e32 v44, s4, v44
	v_and_b32_e32 v46, 31, v45
	v_and_b32_e32 v47, 0xf8, v47
	v_lshrrev_b32_e32 v45, 7, v45
	v_add_u32_e32 v48, s4, v47
	v_and_b32_e32 v47, 0xf8, v45
	ds_read_b64 v[44:45], v44 offset:512
	v_lshl_add_u32 v46, v46, 3, 0
	v_add_u32_e32 v50, s4, v47
	ds_read_b64 v[46:47], v46 offset:15360
	ds_read_b64 v[48:49], v48 offset:256
	;; [unrolled: 1-line block ×3, first 2 shown]
	v_mul_i32_i24_e32 v36, 3, v55
	s_waitcnt lgkmcnt(3)
	v_mul_f32_e32 v52, v53, v45
	v_mul_f32_e32 v54, v56, v45
	v_fma_f32 v52, v44, v56, -v52
	v_fmac_f32_e32 v54, v44, v53
	v_mov_b32_e32 v37, 0
	s_waitcnt vmcnt(0)
	v_pk_mul_f32 v[44:45], v[38:39], v[8:9] op_sel:[0,1]
	v_lshl_add_u64 v[36:37], v[36:37], 3, s[22:23]
	v_pk_fma_f32 v[56:57], v[38:39], v[8:9], v[44:45] op_sel:[0,0,1] op_sel_hi:[1,1,0]
	v_pk_fma_f32 v[8:9], v[38:39], v[8:9], v[44:45] op_sel:[0,0,1] op_sel_hi:[1,0,0] neg_lo:[1,0,0] neg_hi:[1,0,0]
	s_waitcnt lgkmcnt(1)
	v_mul_f32_e32 v45, v46, v49
	v_mov_b32_e32 v57, v9
	v_pk_mul_f32 v[8:9], v[40:41], v[4:5] op_sel:[0,1]
	v_fmac_f32_e32 v45, v47, v48
	v_pk_fma_f32 v[38:39], v[40:41], v[4:5], v[8:9] op_sel:[0,0,1] op_sel_hi:[1,1,0]
	v_pk_fma_f32 v[4:5], v[40:41], v[4:5], v[8:9] op_sel:[0,0,1] op_sel_hi:[1,0,0] neg_lo:[1,0,0] neg_hi:[1,0,0]
	s_and_b64 vcc, exec, vcc
	v_mov_b32_e32 v39, v5
	v_pk_mul_f32 v[4:5], v[42:43], v[0:1] op_sel:[0,1]
	s_nop 0
	v_pk_fma_f32 v[8:9], v[42:43], v[0:1], v[4:5] op_sel:[0,0,1] op_sel_hi:[1,1,0]
	v_pk_fma_f32 v[0:1], v[42:43], v[0:1], v[4:5] op_sel:[0,0,1] op_sel_hi:[1,0,0] neg_lo:[1,0,0] neg_hi:[1,0,0]
	s_nop 0
	v_mov_b32_e32 v9, v1
	v_pk_add_f32 v[0:1], v[34:35], v[38:39] neg_lo:[0,1] neg_hi:[0,1]
	v_pk_add_f32 v[8:9], v[56:57], v[8:9] neg_lo:[0,1] neg_hi:[0,1]
	v_pk_fma_f32 v[4:5], v[34:35], 2.0, v[0:1] op_sel_hi:[1,0,1] neg_lo:[0,0,1] neg_hi:[0,0,1]
	v_pk_fma_f32 v[34:35], v[56:57], 2.0, v[8:9] op_sel_hi:[1,0,1] neg_lo:[0,0,1] neg_hi:[0,0,1]
	v_sub_f32_e32 v43, v1, v8
	v_pk_add_f32 v[38:39], v[4:5], v[34:35] neg_lo:[0,1] neg_hi:[0,1]
	v_add_f32_e32 v42, v0, v9
	v_fma_f32 v1, v1, 2.0, -v43
	v_fma_f32 v5, v5, 2.0, -v39
	;; [unrolled: 1-line block ×3, first 2 shown]
	v_mul_f32_e32 v8, v1, v63
	v_fma_f32 v4, v4, 2.0, -v38
	v_mul_f32_e32 v34, v5, v60
	v_fmac_f32_e32 v8, v0, v62
	v_mul_f32_e32 v0, v0, v63
	v_fmac_f32_e32 v34, v4, v59
	v_mul_f32_e32 v4, v4, v60
	v_fma_f32 v9, v1, v62, -v0
	v_pk_mul_f32 v[0:1], v[38:39], v[54:55] op_sel_hi:[1,0]
	v_fma_f32 v35, v5, v59, -v4
	v_pk_fma_f32 v[4:5], v[38:39], v[52:53], v[0:1] op_sel:[0,0,1] op_sel_hi:[1,1,0]
	v_pk_fma_f32 v[0:1], v[38:39], v[52:53], v[0:1] op_sel:[0,0,1] op_sel_hi:[1,0,0] neg_lo:[0,0,1] neg_hi:[0,0,1]
	s_nop 0
	v_mul_f32_e32 v0, v47, v49
	v_mov_b32_e32 v5, v1
	v_fma_f32 v44, v46, v48, -v0
	global_load_dwordx2 v[0:1], v[36:37], off offset:304
	global_load_dwordx4 v[38:41], v[36:37], off offset:288
	s_waitcnt lgkmcnt(0)
	v_mul_f32_e32 v46, v45, v51
	v_fma_f32 v37, v50, v44, -v46
	v_mul_f32_e32 v44, v44, v51
	v_fmac_f32_e32 v44, v50, v45
	v_mul_f32_e32 v36, v43, v44
	v_fmac_f32_e32 v36, v42, v37
	v_mul_f32_e32 v42, v42, v44
	v_fma_f32 v37, v43, v37, -v42
	v_mul_lo_u32 v42, v55, v22
	v_lshrrev_b32_e32 v44, 2, v42
	v_and_b32_e32 v43, 31, v42
	v_and_b32_e32 v44, 0xf8, v44
	v_lshrrev_b32_e32 v45, 7, v42
	v_lshl_add_u32 v43, v43, 3, 0
	v_add_u32_e32 v44, s4, v44
	v_and_b32_e32 v45, 0xf8, v45
	v_add_u32_e32 v46, s4, v45
	v_add_u32_e32 v50, v42, v61
	ds_read_b64 v[42:43], v43 offset:15360
	ds_read_b64 v[44:45], v44 offset:256
	v_and_b32_e32 v47, 31, v50
	v_lshl_add_u32 v48, v47, 3, 0
	ds_read_b64 v[46:47], v46 offset:512
	ds_read_b64 v[48:49], v48 offset:15360
	v_add_u32_e32 v52, v50, v61
	s_waitcnt lgkmcnt(2)
	v_mul_f32_e32 v51, v43, v45
	v_fma_f32 v51, v42, v44, -v51
	v_mul_f32_e32 v42, v42, v45
	v_fmac_f32_e32 v42, v43, v44
	s_waitcnt lgkmcnt(1)
	v_mul_f32_e32 v43, v42, v47
	v_fma_f32 v53, v46, v51, -v43
	v_mul_f32_e32 v56, v51, v47
	v_lshrrev_b32_e32 v43, 7, v50
	v_fmac_f32_e32 v56, v46, v42
	v_lshrrev_b32_e32 v42, 2, v50
	v_and_b32_e32 v43, 0xf8, v43
	v_and_b32_e32 v42, 0xf8, v42
	v_add_u32_e32 v44, s4, v43
	v_and_b32_e32 v43, 31, v52
	v_add_u32_e32 v42, s4, v42
	v_lshl_add_u32 v46, v43, 3, 0
	v_lshrrev_b32_e32 v43, 2, v52
	v_and_b32_e32 v45, 0xf8, v43
	ds_read_b64 v[42:43], v42 offset:256
	v_add_u32_e32 v50, s4, v45
	ds_read_b64 v[44:45], v44 offset:512
	ds_read_b64 v[46:47], v46 offset:15360
	;; [unrolled: 1-line block ×3, first 2 shown]
	s_waitcnt lgkmcnt(3)
	v_mul_f32_e32 v54, v49, v43
	v_mul_f32_e32 v43, v48, v43
	v_fmac_f32_e32 v43, v49, v42
	v_fma_f32 v54, v48, v42, -v54
	s_waitcnt lgkmcnt(2)
	v_mul_f32_e32 v42, v43, v45
	v_fma_f32 v57, v44, v54, -v42
	v_mul_f32_e32 v59, v54, v45
	s_waitcnt lgkmcnt(0)
	v_mul_f32_e32 v42, v46, v50
	v_fmac_f32_e32 v59, v44, v43
	v_fma_f32 v54, -v47, v51, v42
	v_pk_mul_f32 v[42:43], v[46:47], v[50:51] op_sel:[1,0] op_sel_hi:[0,1]
	v_add_f32_e32 v51, v42, v43
	v_lshrrev_b32_e32 v42, 7, v52
	v_add_u32_e32 v43, v52, v61
	v_and_b32_e32 v42, 0xf8, v42
	v_lshrrev_b32_e32 v45, 2, v43
	v_add_u32_e32 v42, s4, v42
	v_and_b32_e32 v44, 31, v43
	v_and_b32_e32 v45, 0xf8, v45
	v_lshrrev_b32_e32 v43, 7, v43
	v_add_u32_e32 v46, s4, v45
	v_and_b32_e32 v45, 0xf8, v43
	ds_read_b64 v[42:43], v42 offset:512
	v_lshl_add_u32 v44, v44, 3, 0
	v_add_u32_e32 v48, s4, v45
	ds_read_b64 v[44:45], v44 offset:15360
	ds_read_b64 v[46:47], v46 offset:256
	ds_read_b64 v[48:49], v48 offset:512
	s_waitcnt lgkmcnt(3)
	v_mul_f32_e32 v50, v51, v43
	v_mul_f32_e32 v52, v54, v43
	v_fma_f32 v50, v42, v54, -v50
	v_fmac_f32_e32 v52, v42, v51
	s_waitcnt vmcnt(0)
	v_pk_mul_f32 v[42:43], v[38:39], v[10:11] op_sel:[0,1]
	s_nop 0
	v_pk_fma_f32 v[54:55], v[38:39], v[10:11], v[42:43] op_sel:[0,0,1] op_sel_hi:[1,1,0]
	v_pk_fma_f32 v[10:11], v[38:39], v[10:11], v[42:43] op_sel:[0,0,1] op_sel_hi:[1,0,0] neg_lo:[1,0,0] neg_hi:[1,0,0]
	s_nop 0
	v_mov_b32_e32 v55, v11
	v_pk_mul_f32 v[10:11], v[40:41], v[6:7] op_sel:[0,1]
	s_nop 0
	v_pk_fma_f32 v[38:39], v[40:41], v[6:7], v[10:11] op_sel:[0,0,1] op_sel_hi:[1,1,0]
	v_pk_fma_f32 v[6:7], v[40:41], v[6:7], v[10:11] op_sel:[0,0,1] op_sel_hi:[1,0,0] neg_lo:[1,0,0] neg_hi:[1,0,0]
	s_nop 0
	v_mov_b32_e32 v39, v7
	v_pk_mul_f32 v[6:7], v[0:1], v[2:3] op_sel:[0,1]
	v_pk_add_f32 v[38:39], v[32:33], v[38:39] neg_lo:[0,1] neg_hi:[0,1]
	v_pk_fma_f32 v[10:11], v[0:1], v[2:3], v[6:7] op_sel:[0,0,1] op_sel_hi:[1,1,0]
	v_pk_fma_f32 v[0:1], v[0:1], v[2:3], v[6:7] op_sel:[0,0,1] op_sel_hi:[1,0,0] neg_lo:[1,0,0] neg_hi:[1,0,0]
	s_nop 0
	v_mov_b32_e32 v11, v1
	v_pk_add_f32 v[10:11], v[54:55], v[10:11] neg_lo:[0,1] neg_hi:[0,1]
	v_pk_fma_f32 v[0:1], v[32:33], 2.0, v[38:39] op_sel_hi:[1,0,1] neg_lo:[0,0,1] neg_hi:[0,0,1]
	v_pk_fma_f32 v[2:3], v[54:55], 2.0, v[10:11] op_sel_hi:[1,0,1] neg_lo:[0,0,1] neg_hi:[0,0,1]
	v_sub_f32_e32 v70, v39, v10
	v_pk_add_f32 v[32:33], v[0:1], v[2:3] neg_lo:[0,1] neg_hi:[0,1]
	v_add_f32_e32 v42, v38, v11
	v_fma_f32 v40, v0, 2.0, -v32
	v_fma_f32 v41, v1, 2.0, -v33
	global_load_dwordx2 v[6:7], v58, s[22:23] offset:304
	global_load_dwordx4 v[0:3], v58, s[22:23] offset:288
	v_fma_f32 v11, v39, 2.0, -v70
	v_fma_f32 v10, v38, 2.0, -v42
	v_mul_f32_e32 v62, v11, v59
	v_fmac_f32_e32 v62, v10, v57
	v_mul_f32_e32 v10, v10, v59
	v_fma_f32 v63, v11, v57, -v10
	v_pk_mul_f32 v[10:11], v[32:33], v[52:53] op_sel_hi:[1,0]
	v_mul_f32_e32 v38, v40, v56
	v_pk_fma_f32 v[58:59], v[32:33], v[50:51], v[10:11] op_sel:[0,0,1] op_sel_hi:[1,1,0]
	v_pk_fma_f32 v[10:11], v[32:33], v[50:51], v[10:11] op_sel:[0,0,1] op_sel_hi:[1,0,0] neg_lo:[0,0,1] neg_hi:[0,0,1]
	v_fma_f32 v65, v41, v53, -v38
	v_mov_b32_e32 v59, v11
	s_waitcnt lgkmcnt(1)
	v_mul_f32_e32 v11, v44, v47
	v_mul_f32_e32 v10, v45, v47
	v_fmac_f32_e32 v11, v45, v46
	v_fma_f32 v10, v44, v46, -v10
	s_waitcnt lgkmcnt(0)
	v_mul_f32_e32 v32, v11, v49
	v_fma_f32 v38, v48, v10, -v32
	v_mul_f32_e32 v10, v10, v49
	v_fmac_f32_e32 v10, v48, v11
	v_mul_f32_e32 v60, v70, v10
	v_mul_f32_e32 v39, v42, v10
	v_mul_lo_u32 v10, v23, v22
	v_lshrrev_b32_e32 v22, 2, v10
	v_and_b32_e32 v11, 31, v10
	v_and_b32_e32 v22, 0xf8, v22
	v_lshrrev_b32_e32 v23, 7, v10
	v_add_u32_e32 v10, v10, v61
	v_mul_f32_e32 v64, v41, v56
	v_lshl_add_u32 v11, v11, 3, 0
	v_add_u32_e32 v22, s4, v22
	v_and_b32_e32 v23, 0xf8, v23
	v_and_b32_e32 v32, 31, v10
	v_fmac_f32_e32 v64, v40, v53
	v_fmac_f32_e32 v60, v42, v38
	v_add_u32_e32 v23, s4, v23
	v_lshl_add_u32 v32, v32, 3, 0
	ds_read_b64 v[44:45], v11 offset:15360
	ds_read_b64 v[48:49], v22 offset:256
	;; [unrolled: 1-line block ×4, first 2 shown]
	v_lshrrev_b32_e32 v11, 2, v10
	v_lshrrev_b32_e32 v22, 7, v10
	v_add_u32_e32 v10, v10, v61
	v_and_b32_e32 v11, 0xf8, v11
	v_lshrrev_b32_e32 v32, 2, v10
	v_add_u32_e32 v11, s4, v11
	v_and_b32_e32 v22, 0xf8, v22
	v_and_b32_e32 v23, 31, v10
	;; [unrolled: 1-line block ×3, first 2 shown]
	v_add_u32_e32 v22, s4, v22
	v_lshl_add_u32 v23, v23, 3, 0
	v_add_u32_e32 v32, s4, v32
	ds_read_b64 v[54:55], v11 offset:256
	ds_read_b64 v[52:53], v22 offset:512
	;; [unrolled: 1-line block ×4, first 2 shown]
	v_lshrrev_b32_e32 v11, 7, v10
	v_add_u32_e32 v10, v10, v61
	v_and_b32_e32 v22, 31, v10
	v_lshrrev_b32_e32 v23, 2, v10
	v_lshrrev_b32_e32 v10, 7, v10
	v_and_b32_e32 v11, 0xf8, v11
	v_and_b32_e32 v23, 0xf8, v23
	;; [unrolled: 1-line block ×3, first 2 shown]
	v_add_u32_e32 v11, s4, v11
	v_lshl_add_u32 v22, v22, 3, 0
	v_add_u32_e32 v32, s4, v23
	v_add_u32_e32 v10, s4, v10
	ds_read_b64 v[56:57], v11 offset:512
	ds_read_b64 v[22:23], v22 offset:15360
	;; [unrolled: 1-line block ×4, first 2 shown]
	v_fma_f32 v61, v70, v38, -v39
	s_cbranch_vccz .LBB0_48
; %bb.45:
	s_mov_b64 s[6:7], 0
	s_mov_b64 s[4:5], 0
                                        ; implicit-def: $vgpr38_vgpr39
	s_and_saveexec_b64 s[8:9], s[0:1]
	s_xor_b64 s[0:1], exec, s[8:9]
	s_cbranch_execz .LBB0_47
; %bb.46:
	v_mad_u64_u32 v[70:71], s[4:5], s16, v66, 0
	v_mov_b32_e32 v38, v71
	v_mad_u64_u32 v[38:39], s[4:5], s17, v66, v[38:39]
	s_lshl_b64 s[4:5], s[10:11], 3
	s_add_u32 s4, s20, s4
	s_addc_u32 s5, s21, s5
	v_mov_b32_e32 v71, v38
	v_lshl_add_u64 v[38:39], v[12:13], 3, s[4:5]
	v_lshl_add_u64 v[70:71], v[70:71], 3, v[38:39]
	global_store_dwordx2 v[70:71], v[34:35], off
	v_mad_u64_u32 v[70:71], s[4:5], s16, v67, 0
	v_mov_b32_e32 v72, v71
	v_mad_u64_u32 v[72:73], s[4:5], s17, v67, v[72:73]
	v_mov_b32_e32 v71, v72
	v_lshl_add_u64 v[70:71], v[70:71], 3, v[38:39]
	v_add_u32_e32 v73, 0x50, v66
	global_store_dwordx2 v[70:71], v[8:9], off
	v_mad_u64_u32 v[70:71], s[4:5], s16, v73, 0
	v_mov_b32_e32 v72, v71
	v_mad_u64_u32 v[72:73], s[4:5], s17, v73, v[72:73]
	v_mov_b32_e32 v71, v72
	v_lshl_add_u64 v[70:71], v[70:71], 3, v[38:39]
	v_add_u32_e32 v73, 0x78, v66
	global_store_dwordx2 v[70:71], v[4:5], off
	v_mad_u64_u32 v[70:71], s[4:5], s16, v73, 0
	v_mov_b32_e32 v72, v71
	v_mad_u64_u32 v[72:73], s[4:5], s17, v73, v[72:73]
	s_movk_i32 s8, 0x78
	v_mov_b32_e32 v71, v72
	v_lshl_add_u64 v[70:71], v[70:71], 3, v[38:39]
	v_mad_u32_u24 v74, v69, s8, v68
	global_store_dwordx2 v[70:71], v[36:37], off
	v_mad_u64_u32 v[70:71], s[4:5], s16, v74, 0
	v_mov_b32_e32 v72, v71
	v_mad_u64_u32 v[72:73], s[4:5], s17, v74, v[72:73]
	v_mov_b32_e32 v71, v72
	v_lshl_add_u64 v[70:71], v[70:71], 3, v[38:39]
	v_add_u32_e32 v73, 40, v74
	global_store_dwordx2 v[70:71], v[64:65], off
	v_mad_u64_u32 v[70:71], s[4:5], s16, v73, 0
	v_mov_b32_e32 v72, v71
	v_mad_u64_u32 v[72:73], s[4:5], s17, v73, v[72:73]
	v_mov_b32_e32 v71, v72
	v_lshl_add_u64 v[70:71], v[70:71], 3, v[38:39]
	v_add_u32_e32 v73, 0x50, v74
	;; [unrolled: 7-line block ×3, first 2 shown]
	global_store_dwordx2 v[70:71], v[58:59], off
	v_mad_u64_u32 v[70:71], s[4:5], s16, v73, 0
	v_mov_b32_e32 v72, v71
	v_mad_u64_u32 v[72:73], s[4:5], s17, v73, v[72:73]
	v_mov_b32_e32 v71, v72
	v_lshl_add_u64 v[70:71], v[70:71], 3, v[38:39]
	global_store_dwordx2 v[70:71], v[60:61], off
	s_and_b64 s[4:5], s[2:3], exec
.LBB0_47:
	s_or_b64 exec, exec, s[0:1]
	s_and_b64 vcc, exec, s[6:7]
	s_cbranch_vccnz .LBB0_49
	s_branch .LBB0_50
.LBB0_48:
	s_mov_b64 s[4:5], 0
                                        ; implicit-def: $vgpr38_vgpr39
	s_cbranch_execz .LBB0_50
.LBB0_49:
	v_mad_u64_u32 v[70:71], s[0:1], s16, v66, 0
	v_mov_b32_e32 v38, v71
	v_mad_u64_u32 v[38:39], s[0:1], s17, v66, v[38:39]
	s_lshl_b64 s[0:1], s[10:11], 3
	s_add_u32 s0, s20, s0
	s_addc_u32 s1, s21, s1
	v_mov_b32_e32 v71, v38
	v_lshl_add_u64 v[38:39], v[12:13], 3, s[0:1]
	v_lshl_add_u64 v[12:13], v[70:71], 3, v[38:39]
	global_store_dwordx2 v[12:13], v[34:35], off
	v_mad_u64_u32 v[12:13], s[0:1], s16, v67, 0
	v_mov_b32_e32 v34, v13
	v_mad_u64_u32 v[34:35], s[0:1], s17, v67, v[34:35]
	v_mov_b32_e32 v13, v34
	v_lshl_add_u64 v[12:13], v[12:13], 3, v[38:39]
	global_store_dwordx2 v[12:13], v[8:9], off
	v_add_u32_e32 v13, 0x50, v66
	v_mad_u64_u32 v[8:9], s[0:1], s16, v13, 0
	v_mov_b32_e32 v12, v9
	v_mad_u64_u32 v[12:13], s[0:1], s17, v13, v[12:13]
	v_mov_b32_e32 v9, v12
	v_lshl_add_u64 v[8:9], v[8:9], 3, v[38:39]
	global_store_dwordx2 v[8:9], v[4:5], off
	v_add_u32_e32 v9, 0x78, v66
	v_mad_u64_u32 v[4:5], s[0:1], s16, v9, 0
	v_mov_b32_e32 v8, v5
	v_mad_u64_u32 v[8:9], s[0:1], s17, v9, v[8:9]
	s_movk_i32 s6, 0x78
	v_mov_b32_e32 v5, v8
	v_lshl_add_u64 v[4:5], v[4:5], 3, v[38:39]
	v_mad_u32_u24 v12, v69, s6, v68
	global_store_dwordx2 v[4:5], v[36:37], off
	v_mad_u64_u32 v[4:5], s[0:1], s16, v12, 0
	v_mov_b32_e32 v8, v5
	v_mad_u64_u32 v[8:9], s[0:1], s17, v12, v[8:9]
	v_mov_b32_e32 v5, v8
	v_lshl_add_u64 v[4:5], v[4:5], 3, v[38:39]
	v_add_u32_e32 v9, 40, v12
	global_store_dwordx2 v[4:5], v[64:65], off
	v_mad_u64_u32 v[4:5], s[0:1], s16, v9, 0
	v_mov_b32_e32 v8, v5
	v_mad_u64_u32 v[8:9], s[0:1], s17, v9, v[8:9]
	v_mov_b32_e32 v5, v8
	v_lshl_add_u64 v[4:5], v[4:5], 3, v[38:39]
	v_add_u32_e32 v9, 0x50, v12
	;; [unrolled: 7-line block ×3, first 2 shown]
	global_store_dwordx2 v[4:5], v[58:59], off
	v_mad_u64_u32 v[4:5], s[0:1], s16, v9, 0
	v_mov_b32_e32 v8, v5
	v_mad_u64_u32 v[8:9], s[0:1], s17, v9, v[8:9]
	v_mov_b32_e32 v5, v8
	s_andn2_b64 s[0:1], s[4:5], exec
	s_and_b64 s[2:3], s[2:3], exec
	v_lshl_add_u64 v[4:5], v[4:5], 3, v[38:39]
	s_or_b64 s[4:5], s[0:1], s[2:3]
	global_store_dwordx2 v[4:5], v[60:61], off
.LBB0_50:
	s_and_saveexec_b64 s[0:1], s[4:5]
	s_cbranch_execnz .LBB0_52
; %bb.51:
	s_endpgm
.LBB0_52:
	s_waitcnt lgkmcnt(10)
	v_mul_f32_e32 v4, v45, v49
	v_mov_b32_e32 v12, v31
	v_fma_f32 v4, v44, v48, -v4
	v_mul_f32_e32 v5, v44, v49
	s_waitcnt vmcnt(0)
	v_pk_mul_f32 v[12:13], v[12:13], v[0:1] op_sel_hi:[0,1]
	v_fmac_f32_e32 v5, v45, v48
	s_waitcnt lgkmcnt(9)
	v_mul_f32_e32 v36, v4, v43
	v_pk_fma_f32 v[34:35], v[30:31], v[0:1], v[12:13] op_sel:[0,0,1] op_sel_hi:[1,1,0]
	v_pk_fma_f32 v[0:1], v[30:31], v[0:1], v[12:13] op_sel:[0,0,1] op_sel_hi:[0,1,0] neg_lo:[1,0,0] neg_hi:[1,0,0]
	v_mul_f32_e32 v8, v5, v43
	v_fmac_f32_e32 v36, v42, v5
	s_waitcnt lgkmcnt(7)
	v_mul_f32_e32 v5, v40, v55
	v_mov_b32_e32 v35, v1
	v_pk_mul_f32 v[0:1], v[24:25], v[2:3] op_sel:[1,0]
	v_fma_f32 v9, v42, v4, -v8
	v_mul_f32_e32 v4, v41, v55
	v_fmac_f32_e32 v5, v41, v54
	v_pk_fma_f32 v[12:13], v[26:27], v[2:3], v[0:1] op_sel:[0,0,1] op_sel_hi:[1,1,0]
	v_pk_fma_f32 v[0:1], v[26:27], v[2:3], v[0:1] op_sel:[0,0,1] op_sel_hi:[0,1,0] neg_lo:[1,0,0] neg_hi:[1,0,0]
	v_fma_f32 v4, v40, v54, -v4
	s_waitcnt lgkmcnt(6)
	v_mul_f32_e32 v8, v5, v53
	v_mov_b32_e32 v13, v1
	v_pk_mul_f32 v[0:1], v[26:27], v[6:7] op_sel:[1,0]
	v_fma_f32 v37, v52, v4, -v8
	v_mul_f32_e32 v40, v4, v53
	s_waitcnt lgkmcnt(4)
	v_mul_f32_e32 v4, v46, v50
	v_pk_fma_f32 v[2:3], v[24:25], v[6:7], v[0:1] op_sel:[0,0,1] op_sel_hi:[1,1,0]
	v_pk_fma_f32 v[0:1], v[24:25], v[6:7], v[0:1] op_sel:[0,0,1] op_sel_hi:[0,1,0] neg_lo:[1,0,0] neg_hi:[1,0,0]
	v_fmac_f32_e32 v40, v52, v5
	v_fma_f32 v8, -v47, v51, v4
	v_pk_mul_f32 v[4:5], v[46:47], v[50:51] op_sel:[1,0] op_sel_hi:[0,1]
	v_mov_b32_e32 v3, v1
	v_add_f32_e32 v5, v4, v5
	v_pk_add_f32 v[0:1], v[28:29], v[12:13] neg_lo:[0,1] neg_hi:[0,1]
	v_pk_add_f32 v[2:3], v[34:35], v[2:3] neg_lo:[0,1] neg_hi:[0,1]
	s_waitcnt lgkmcnt(3)
	v_mul_f32_e32 v4, v5, v57
	v_pk_fma_f32 v[6:7], v[28:29], 2.0, v[0:1] op_sel_hi:[1,0,1] neg_lo:[0,0,1] neg_hi:[0,0,1]
	v_pk_fma_f32 v[12:13], v[34:35], 2.0, v[2:3] op_sel_hi:[1,0,1] neg_lo:[0,0,1] neg_hi:[0,0,1]
	v_fma_f32 v4, v56, v8, -v4
	v_mul_f32_e32 v8, v8, v57
	v_pk_add_f32 v[12:13], v[6:7], v[12:13] neg_lo:[0,1] neg_hi:[0,1]
	v_sub_f32_e32 v25, v1, v2
	v_fmac_f32_e32 v8, v56, v5
	v_fma_f32 v5, v6, 2.0, -v12
	v_fma_f32 v6, v7, 2.0, -v13
	v_add_f32_e32 v24, v0, v3
	v_fma_f32 v7, v1, 2.0, -v25
	v_fma_f32 v3, v0, 2.0, -v24
	v_mul_f32_e32 v2, v7, v40
	v_mul_f32_e32 v1, v5, v36
	v_fmac_f32_e32 v2, v3, v37
	v_mul_f32_e32 v3, v3, v40
	v_mul_f32_e32 v0, v6, v36
	v_fma_f32 v1, v6, v9, -v1
	v_fma_f32 v3, v7, v37, -v3
	v_pk_mul_f32 v[6:7], v[12:13], v[8:9] op_sel_hi:[1,0]
	v_fmac_f32_e32 v0, v5, v9
	v_pk_fma_f32 v[8:9], v[12:13], v[4:5], v[6:7] op_sel:[0,0,1] op_sel_hi:[1,1,0]
	v_pk_fma_f32 v[4:5], v[12:13], v[4:5], v[6:7] op_sel:[0,0,1] op_sel_hi:[1,0,0] neg_lo:[0,0,1] neg_hi:[0,0,1]
	s_waitcnt lgkmcnt(1)
	v_mul_f32_e32 v6, v22, v33
	v_mul_f32_e32 v4, v23, v33
	v_fmac_f32_e32 v6, v23, v32
	v_fma_f32 v4, v22, v32, -v4
	s_waitcnt lgkmcnt(0)
	v_mul_f32_e32 v7, v6, v11
	v_fma_f32 v7, v10, v4, -v7
	v_mul_f32_e32 v4, v4, v11
	v_fmac_f32_e32 v4, v10, v6
	v_lshl_add_u64 v[10:11], v[14:15], 3, v[38:39]
	global_store_dwordx2 v[10:11], v[0:1], off
	v_lshl_add_u64 v[0:1], v[16:17], 3, v[38:39]
	v_mul_f32_e32 v6, v25, v4
	v_mul_f32_e32 v4, v24, v4
	global_store_dwordx2 v[0:1], v[2:3], off
	v_lshl_add_u64 v[0:1], v[18:19], 3, v[38:39]
	v_mov_b32_e32 v9, v5
	v_fmac_f32_e32 v6, v24, v7
	v_fma_f32 v7, v25, v7, -v4
	global_store_dwordx2 v[0:1], v[8:9], off
	v_lshl_add_u64 v[0:1], v[20:21], 3, v[38:39]
	global_store_dwordx2 v[0:1], v[6:7], off
	s_endpgm
	.section	.rodata,"a",@progbits
	.p2align	6, 0x0
	.amdhsa_kernel fft_rtc_back_len160_factors_4_10_4_wgs_192_tpt_16_sp_ip_CI_sbcc_twdbase5_3step_dirReg_intrinsicRead
		.amdhsa_group_segment_fixed_size 0
		.amdhsa_private_segment_fixed_size 0
		.amdhsa_kernarg_size 96
		.amdhsa_user_sgpr_count 2
		.amdhsa_user_sgpr_dispatch_ptr 0
		.amdhsa_user_sgpr_queue_ptr 0
		.amdhsa_user_sgpr_kernarg_segment_ptr 1
		.amdhsa_user_sgpr_dispatch_id 0
		.amdhsa_user_sgpr_kernarg_preload_length 0
		.amdhsa_user_sgpr_kernarg_preload_offset 0
		.amdhsa_user_sgpr_private_segment_size 0
		.amdhsa_uses_dynamic_stack 0
		.amdhsa_enable_private_segment 0
		.amdhsa_system_sgpr_workgroup_id_x 1
		.amdhsa_system_sgpr_workgroup_id_y 0
		.amdhsa_system_sgpr_workgroup_id_z 0
		.amdhsa_system_sgpr_workgroup_info 0
		.amdhsa_system_vgpr_workitem_id 0
		.amdhsa_next_free_vgpr 88
		.amdhsa_next_free_sgpr 47
		.amdhsa_accum_offset 88
		.amdhsa_reserve_vcc 1
		.amdhsa_float_round_mode_32 0
		.amdhsa_float_round_mode_16_64 0
		.amdhsa_float_denorm_mode_32 3
		.amdhsa_float_denorm_mode_16_64 3
		.amdhsa_dx10_clamp 1
		.amdhsa_ieee_mode 1
		.amdhsa_fp16_overflow 0
		.amdhsa_tg_split 0
		.amdhsa_exception_fp_ieee_invalid_op 0
		.amdhsa_exception_fp_denorm_src 0
		.amdhsa_exception_fp_ieee_div_zero 0
		.amdhsa_exception_fp_ieee_overflow 0
		.amdhsa_exception_fp_ieee_underflow 0
		.amdhsa_exception_fp_ieee_inexact 0
		.amdhsa_exception_int_div_zero 0
	.end_amdhsa_kernel
	.text
.Lfunc_end0:
	.size	fft_rtc_back_len160_factors_4_10_4_wgs_192_tpt_16_sp_ip_CI_sbcc_twdbase5_3step_dirReg_intrinsicRead, .Lfunc_end0-fft_rtc_back_len160_factors_4_10_4_wgs_192_tpt_16_sp_ip_CI_sbcc_twdbase5_3step_dirReg_intrinsicRead
                                        ; -- End function
	.section	.AMDGPU.csdata,"",@progbits
; Kernel info:
; codeLenInByte = 7892
; NumSgprs: 53
; NumVgprs: 88
; NumAgprs: 0
; TotalNumVgprs: 88
; ScratchSize: 0
; MemoryBound: 0
; FloatMode: 240
; IeeeMode: 1
; LDSByteSize: 0 bytes/workgroup (compile time only)
; SGPRBlocks: 6
; VGPRBlocks: 10
; NumSGPRsForWavesPerEU: 53
; NumVGPRsForWavesPerEU: 88
; AccumOffset: 88
; Occupancy: 5
; WaveLimiterHint : 1
; COMPUTE_PGM_RSRC2:SCRATCH_EN: 0
; COMPUTE_PGM_RSRC2:USER_SGPR: 2
; COMPUTE_PGM_RSRC2:TRAP_HANDLER: 0
; COMPUTE_PGM_RSRC2:TGID_X_EN: 1
; COMPUTE_PGM_RSRC2:TGID_Y_EN: 0
; COMPUTE_PGM_RSRC2:TGID_Z_EN: 0
; COMPUTE_PGM_RSRC2:TIDIG_COMP_CNT: 0
; COMPUTE_PGM_RSRC3_GFX90A:ACCUM_OFFSET: 21
; COMPUTE_PGM_RSRC3_GFX90A:TG_SPLIT: 0
	.text
	.p2alignl 6, 3212836864
	.fill 256, 4, 3212836864
	.type	__hip_cuid_7c945f2e978684f7,@object ; @__hip_cuid_7c945f2e978684f7
	.section	.bss,"aw",@nobits
	.globl	__hip_cuid_7c945f2e978684f7
__hip_cuid_7c945f2e978684f7:
	.byte	0                               ; 0x0
	.size	__hip_cuid_7c945f2e978684f7, 1

	.ident	"AMD clang version 19.0.0git (https://github.com/RadeonOpenCompute/llvm-project roc-6.4.0 25133 c7fe45cf4b819c5991fe208aaa96edf142730f1d)"
	.section	".note.GNU-stack","",@progbits
	.addrsig
	.addrsig_sym __hip_cuid_7c945f2e978684f7
	.amdgpu_metadata
---
amdhsa.kernels:
  - .agpr_count:     0
    .args:
      - .actual_access:  read_only
        .address_space:  global
        .offset:         0
        .size:           8
        .value_kind:     global_buffer
      - .address_space:  global
        .offset:         8
        .size:           8
        .value_kind:     global_buffer
      - .offset:         16
        .size:           8
        .value_kind:     by_value
      - .actual_access:  read_only
        .address_space:  global
        .offset:         24
        .size:           8
        .value_kind:     global_buffer
      - .actual_access:  read_only
        .address_space:  global
        .offset:         32
        .size:           8
        .value_kind:     global_buffer
      - .offset:         40
        .size:           8
        .value_kind:     by_value
      - .actual_access:  read_only
        .address_space:  global
        .offset:         48
        .size:           8
        .value_kind:     global_buffer
      - .actual_access:  read_only
        .address_space:  global
        .offset:         56
        .size:           8
        .value_kind:     global_buffer
      - .offset:         64
        .size:           4
        .value_kind:     by_value
      - .actual_access:  read_only
        .address_space:  global
        .offset:         72
        .size:           8
        .value_kind:     global_buffer
      - .actual_access:  read_only
        .address_space:  global
        .offset:         80
        .size:           8
        .value_kind:     global_buffer
      - .address_space:  global
        .offset:         88
        .size:           8
        .value_kind:     global_buffer
    .group_segment_fixed_size: 0
    .kernarg_segment_align: 8
    .kernarg_segment_size: 96
    .language:       OpenCL C
    .language_version:
      - 2
      - 0
    .max_flat_workgroup_size: 192
    .name:           fft_rtc_back_len160_factors_4_10_4_wgs_192_tpt_16_sp_ip_CI_sbcc_twdbase5_3step_dirReg_intrinsicRead
    .private_segment_fixed_size: 0
    .sgpr_count:     53
    .sgpr_spill_count: 0
    .symbol:         fft_rtc_back_len160_factors_4_10_4_wgs_192_tpt_16_sp_ip_CI_sbcc_twdbase5_3step_dirReg_intrinsicRead.kd
    .uniform_work_group_size: 1
    .uses_dynamic_stack: false
    .vgpr_count:     88
    .vgpr_spill_count: 0
    .wavefront_size: 64
amdhsa.target:   amdgcn-amd-amdhsa--gfx950
amdhsa.version:
  - 1
  - 2
...

	.end_amdgpu_metadata
